;; amdgpu-corpus repo=ROCm/rocFFT kind=compiled arch=gfx950 opt=O3
	.text
	.amdgcn_target "amdgcn-amd-amdhsa--gfx950"
	.amdhsa_code_object_version 6
	.protected	bluestein_single_fwd_len30_dim1_dp_op_CI_CI ; -- Begin function bluestein_single_fwd_len30_dim1_dp_op_CI_CI
	.globl	bluestein_single_fwd_len30_dim1_dp_op_CI_CI
	.p2align	8
	.type	bluestein_single_fwd_len30_dim1_dp_op_CI_CI,@function
bluestein_single_fwd_len30_dim1_dp_op_CI_CI: ; @bluestein_single_fwd_len30_dim1_dp_op_CI_CI
; %bb.0:
	s_load_dwordx4 s[8:11], s[0:1], 0x28
	v_mul_u32_u24_e32 v1, 0x199a, v0
	v_lshrrev_b32_e32 v2, 16, v1
	v_mad_u64_u32 v[56:57], s[2:3], s2, 12, v[2:3]
	v_mov_b32_e32 v57, 0
	s_waitcnt lgkmcnt(0)
	v_cmp_gt_u64_e32 vcc, s[8:9], v[56:57]
	s_and_saveexec_b64 s[2:3], vcc
	s_cbranch_execz .LBB0_15
; %bb.1:
	v_mul_lo_u16_e32 v1, 10, v2
	s_mov_b32 s2, 0xaaaaaaab
	v_sub_u16_e32 v60, v0, v1
	v_mul_hi_u32 v0, v56, s2
	s_load_dwordx2 s[8:9], s[0:1], 0x0
	s_load_dwordx2 s[12:13], s[0:1], 0x38
	v_lshrrev_b32_e32 v0, 3, v0
	v_mul_lo_u32 v0, v0, 12
	v_sub_u32_e32 v0, v56, v0
	v_mul_u32_u24_e32 v63, 30, v0
	v_cmp_gt_u16_e32 vcc, 3, v60
	v_lshlrev_b32_e32 v62, 4, v60
	v_lshlrev_b32_e32 v64, 4, v63
	v_or_b32_e32 v61, 12, v60
	v_or_b32_e32 v57, 24, v60
	s_and_saveexec_b64 s[2:3], vcc
	s_cbranch_execz .LBB0_3
; %bb.2:
	s_load_dwordx2 s[4:5], s[0:1], 0x18
	v_mov_b32_e32 v0, s10
	v_mov_b32_e32 v1, s11
	;; [unrolled: 1-line block ×3, first 2 shown]
	s_waitcnt lgkmcnt(0)
	s_load_dwordx4 s[4:7], s[4:5], 0x0
	s_waitcnt lgkmcnt(0)
	v_mad_u64_u32 v[2:3], s[10:11], s6, v56, 0
	v_mad_u64_u32 v[4:5], s[10:11], s4, v60, 0
	v_mov_b32_e32 v6, v3
	v_mov_b32_e32 v8, v5
	v_mad_u64_u32 v[6:7], s[6:7], s7, v56, v[6:7]
	v_mov_b32_e32 v3, v6
	v_mad_u64_u32 v[6:7], s[6:7], s5, v60, v[8:9]
	v_mov_b32_e32 v5, v6
	v_lshl_add_u64 v[0:1], v[2:3], 4, v[0:1]
	v_lshl_add_u64 v[22:23], v[4:5], 4, v[0:1]
	v_mad_u64_u32 v[2:3], s[6:7], s4, v61, 0
	v_mov_b32_e32 v4, v3
	s_mul_i32 s10, s5, 48
	v_mad_u64_u32 v[38:39], s[6:7], s4, 48, v[22:23]
	v_mad_u64_u32 v[4:5], s[6:7], s5, v61, v[4:5]
	v_add_u32_e32 v39, s10, v39
	v_mov_b32_e32 v3, v4
	v_mad_u64_u32 v[50:51], s[6:7], s4, 48, v[38:39]
	v_lshl_add_u64 v[24:25], v[2:3], 4, v[0:1]
	global_load_dwordx4 v[2:5], v62, s[8:9] offset:192
	global_load_dwordx4 v[6:9], v[22:23], off
	global_load_dwordx4 v[10:13], v[24:25], off
	global_load_dwordx4 v[14:17], v62, s[8:9]
	global_load_dwordx4 v[18:21], v62, s[8:9] offset:48
	v_add_u32_e32 v51, s10, v51
	v_mad_u64_u32 v[54:55], s[6:7], s4, 48, v[50:51]
	global_load_dwordx4 v[22:25], v[38:39], off
	global_load_dwordx4 v[26:29], v[50:51], off
	global_load_dwordx4 v[30:33], v62, s[8:9] offset:96
	global_load_dwordx4 v[34:37], v62, s[8:9] offset:144
	v_add_u32_e32 v55, s10, v55
	global_load_dwordx4 v[38:41], v62, s[8:9] offset:240
	global_load_dwordx4 v[42:45], v62, s[8:9] offset:288
	;; [unrolled: 1-line block ×3, first 2 shown]
	s_mul_i32 s11, s5, 0x60
	global_load_dwordx4 v[50:53], v[54:55], off
	v_mad_u64_u32 v[54:55], s[6:7], s4, v65, v[54:55]
	v_add_u32_e32 v55, s11, v55
	global_load_dwordx4 v[66:69], v[54:55], off
	v_mad_u64_u32 v[54:55], s[6:7], s4, 48, v[54:55]
	v_mad_u64_u32 v[58:59], s[6:7], s4, v57, 0
	v_add_u32_e32 v55, s10, v55
	v_mov_b32_e32 v78, v59
	global_load_dwordx4 v[70:73], v[54:55], off
	v_mad_u64_u32 v[54:55], s[6:7], s4, 48, v[54:55]
	v_add_u32_e32 v55, s10, v55
	v_mad_u64_u32 v[78:79], s[6:7], s5, v57, v[78:79]
	global_load_dwordx4 v[74:77], v[54:55], off
	v_mov_b32_e32 v59, v78
	v_lshl_add_u64 v[0:1], v[58:59], 4, v[0:1]
	global_load_dwordx4 v[78:81], v[0:1], off
	global_load_dwordx4 v[82:85], v62, s[8:9] offset:384
	global_load_dwordx4 v[86:89], v62, s[8:9] offset:432
	v_mad_u64_u32 v[0:1], s[4:5], s4, v65, v[54:55]
	v_add_u32_e32 v1, s11, v1
	global_load_dwordx4 v[90:93], v[0:1], off
	v_lshl_add_u32 v54, v60, 4, v64
	v_add_u32_e32 v55, v64, v62
	s_waitcnt vmcnt(17)
	v_mul_f64 v[0:1], v[12:13], v[4:5]
	s_waitcnt vmcnt(16)
	v_mul_f64 v[94:95], v[8:9], v[16:17]
	v_mul_f64 v[16:17], v[6:7], v[16:17]
	;; [unrolled: 1-line block ×3, first 2 shown]
	v_fmac_f64_e32 v[94:95], v[6:7], v[14:15]
	v_fma_f64 v[96:97], v[8:9], v[14:15], -v[16:17]
	v_fmac_f64_e32 v[0:1], v[10:11], v[2:3]
	v_fma_f64 v[2:3], v[12:13], v[2:3], -v[4:5]
	ds_write_b128 v54, v[94:97]
	ds_write_b128 v55, v[0:3] offset:192
	s_waitcnt vmcnt(12)
	v_mul_f64 v[2:3], v[26:27], v[32:33]
	v_mul_f64 v[0:1], v[28:29], v[32:33]
	v_fma_f64 v[2:3], v[28:29], v[30:31], -v[2:3]
	v_fmac_f64_e32 v[0:1], v[26:27], v[30:31]
	ds_write_b128 v55, v[0:3] offset:96
	s_waitcnt vmcnt(7)
	v_mul_f64 v[2:3], v[50:51], v[36:37]
	v_mul_f64 v[0:1], v[52:53], v[36:37]
	v_fma_f64 v[2:3], v[52:53], v[34:35], -v[2:3]
	v_fmac_f64_e32 v[0:1], v[50:51], v[34:35]
	ds_write_b128 v55, v[0:3] offset:144
	s_waitcnt vmcnt(6)
	v_mul_f64 v[0:1], v[68:69], v[40:41]
	v_mul_f64 v[2:3], v[66:67], v[40:41]
	v_fmac_f64_e32 v[0:1], v[66:67], v[38:39]
	v_fma_f64 v[2:3], v[68:69], v[38:39], -v[2:3]
	ds_write_b128 v55, v[0:3] offset:240
	s_waitcnt vmcnt(5)
	v_mul_f64 v[0:1], v[72:73], v[44:45]
	v_mul_f64 v[2:3], v[70:71], v[44:45]
	v_fmac_f64_e32 v[0:1], v[70:71], v[42:43]
	v_fma_f64 v[2:3], v[72:73], v[42:43], -v[2:3]
	;; [unrolled: 6-line block ×4, first 2 shown]
	v_mul_f64 v[6:7], v[22:23], v[20:21]
	v_mul_f64 v[4:5], v[24:25], v[20:21]
	ds_write_b128 v55, v[0:3] offset:384
	s_waitcnt vmcnt(0)
	v_mul_f64 v[0:1], v[92:93], v[88:89]
	v_mul_f64 v[2:3], v[90:91], v[88:89]
	v_fma_f64 v[6:7], v[24:25], v[18:19], -v[6:7]
	v_fmac_f64_e32 v[4:5], v[22:23], v[18:19]
	v_fmac_f64_e32 v[0:1], v[90:91], v[86:87]
	v_fma_f64 v[2:3], v[92:93], v[86:87], -v[2:3]
	ds_write_b128 v55, v[4:7] offset:48
	ds_write_b128 v55, v[0:3] offset:432
.LBB0_3:
	s_or_b64 exec, exec, s[2:3]
	s_load_dwordx2 s[2:3], s[0:1], 0x20
	s_load_dwordx2 s[4:5], s[0:1], 0x8
	s_waitcnt lgkmcnt(0)
	s_barrier
	s_waitcnt lgkmcnt(0)
                                        ; implicit-def: $vgpr16_vgpr17
                                        ; implicit-def: $vgpr32_vgpr33
                                        ; implicit-def: $vgpr2_vgpr3
                                        ; implicit-def: $vgpr28_vgpr29
                                        ; implicit-def: $vgpr12_vgpr13
                                        ; implicit-def: $vgpr6_vgpr7
                                        ; implicit-def: $vgpr34_vgpr35
                                        ; implicit-def: $vgpr18_vgpr19
                                        ; implicit-def: $vgpr38_vgpr39
                                        ; implicit-def: $vgpr22_vgpr23
	s_and_saveexec_b64 s[0:1], vcc
	s_cbranch_execz .LBB0_5
; %bb.4:
	v_lshl_add_u32 v8, v63, 4, v62
	ds_read_b128 v[4:7], v8
	ds_read_b128 v[10:13], v8 offset:48
	ds_read_b128 v[26:29], v8 offset:96
	;; [unrolled: 1-line block ×9, first 2 shown]
.LBB0_5:
	s_or_b64 exec, exec, s[0:1]
	s_waitcnt lgkmcnt(3)
	v_add_f64 v[42:43], v[30:31], v[34:35]
	s_mov_b32 s0, 0x134454ff
	v_fma_f64 v[66:67], -0.5, v[42:43], v[4:5]
	s_waitcnt lgkmcnt(1)
	v_add_f64 v[46:47], v[28:29], -v[40:41]
	s_mov_b32 s1, 0x3fee6f0e
	s_mov_b32 s6, 0x4755a5e
	;; [unrolled: 1-line block ×4, first 2 shown]
	v_fma_f64 v[42:43], s[0:1], v[46:47], v[66:67]
	v_add_f64 v[48:49], v[32:33], -v[36:37]
	s_mov_b32 s7, 0x3fe2cf23
	v_add_f64 v[44:45], v[26:27], -v[30:31]
	v_add_f64 v[50:51], v[38:39], -v[34:35]
	s_mov_b32 s10, 0x372fe950
	v_fmac_f64_e32 v[66:67], s[14:15], v[46:47]
	s_mov_b32 s17, 0xbfe2cf23
	s_mov_b32 s16, s6
	v_fmac_f64_e32 v[42:43], s[6:7], v[48:49]
	v_add_f64 v[44:45], v[44:45], v[50:51]
	s_mov_b32 s11, 0x3fd3c6ef
	v_fmac_f64_e32 v[66:67], s[16:17], v[48:49]
	v_fmac_f64_e32 v[42:43], s[10:11], v[44:45]
	v_fmac_f64_e32 v[66:67], s[10:11], v[44:45]
	v_add_f64 v[44:45], v[26:27], v[38:39]
	v_add_f64 v[8:9], v[26:27], v[4:5]
	v_fmac_f64_e32 v[4:5], -0.5, v[44:45]
	v_fma_f64 v[44:45], s[14:15], v[48:49], v[4:5]
	v_fmac_f64_e32 v[4:5], s[0:1], v[48:49]
	v_fmac_f64_e32 v[44:45], s[6:7], v[46:47]
	v_add_f64 v[50:51], v[30:31], -v[26:27]
	v_add_f64 v[52:53], v[34:35], -v[38:39]
	v_fmac_f64_e32 v[4:5], s[16:17], v[46:47]
	v_add_f64 v[46:47], v[32:33], v[36:37]
	v_add_f64 v[50:51], v[50:51], v[52:53]
	v_fma_f64 v[68:69], -0.5, v[46:47], v[6:7]
	v_add_f64 v[26:27], v[26:27], -v[38:39]
	v_fmac_f64_e32 v[44:45], s[10:11], v[50:51]
	v_fmac_f64_e32 v[4:5], s[10:11], v[50:51]
	v_fma_f64 v[46:47], s[14:15], v[26:27], v[68:69]
	v_add_f64 v[48:49], v[28:29], -v[32:33]
	v_add_f64 v[50:51], v[40:41], -v[36:37]
	;; [unrolled: 1-line block ×3, first 2 shown]
	v_fmac_f64_e32 v[68:69], s[0:1], v[26:27]
	v_add_f64 v[48:49], v[48:49], v[50:51]
	v_fmac_f64_e32 v[46:47], s[16:17], v[52:53]
	v_fmac_f64_e32 v[68:69], s[6:7], v[52:53]
	v_add_f64 v[8:9], v[30:31], v[8:9]
	v_fmac_f64_e32 v[46:47], s[10:11], v[48:49]
	v_fmac_f64_e32 v[68:69], s[10:11], v[48:49]
	v_add_f64 v[48:49], v[28:29], v[6:7]
	v_add_f64 v[50:51], v[28:29], v[40:41]
	;; [unrolled: 1-line block ×3, first 2 shown]
	v_fmac_f64_e32 v[6:7], -0.5, v[50:51]
	v_add_f64 v[38:39], v[8:9], v[38:39]
	v_add_f64 v[8:9], v[32:33], v[48:49]
	;; [unrolled: 1-line block ×3, first 2 shown]
	v_fma_f64 v[50:51], s[0:1], v[52:53], v[6:7]
	v_fmac_f64_e32 v[6:7], s[14:15], v[52:53]
	v_add_f64 v[48:49], v[8:9], v[40:41]
	v_add_f64 v[8:9], v[32:33], -v[28:29]
	v_fmac_f64_e32 v[50:51], s[16:17], v[26:27]
	v_add_f64 v[28:29], v[36:37], -v[40:41]
	v_fmac_f64_e32 v[6:7], s[6:7], v[26:27]
	v_add_f64 v[26:27], v[14:15], v[18:19]
	v_add_f64 v[8:9], v[8:9], v[28:29]
	v_fma_f64 v[26:27], -0.5, v[26:27], v[10:11]
	s_waitcnt lgkmcnt(0)
	v_add_f64 v[28:29], v[2:3], -v[24:25]
	v_fma_f64 v[30:31], s[0:1], v[28:29], v[26:27]
	v_add_f64 v[32:33], v[16:17], -v[20:21]
	v_add_f64 v[34:35], v[0:1], -v[14:15]
	v_add_f64 v[36:37], v[22:23], -v[18:19]
	v_fmac_f64_e32 v[26:27], s[14:15], v[28:29]
	v_fmac_f64_e32 v[30:31], s[6:7], v[32:33]
	v_add_f64 v[34:35], v[34:35], v[36:37]
	v_fmac_f64_e32 v[26:27], s[16:17], v[32:33]
	v_fmac_f64_e32 v[30:31], s[10:11], v[34:35]
	;; [unrolled: 1-line block ×3, first 2 shown]
	v_add_f64 v[34:35], v[0:1], v[22:23]
	v_fmac_f64_e32 v[50:51], s[10:11], v[8:9]
	v_fmac_f64_e32 v[6:7], s[10:11], v[8:9]
	v_add_f64 v[8:9], v[0:1], v[10:11]
	v_fmac_f64_e32 v[10:11], -0.5, v[34:35]
	v_fma_f64 v[34:35], s[14:15], v[32:33], v[10:11]
	v_add_f64 v[36:37], v[14:15], -v[0:1]
	v_add_f64 v[40:41], v[18:19], -v[22:23]
	v_fmac_f64_e32 v[10:11], s[0:1], v[32:33]
	v_fmac_f64_e32 v[34:35], s[6:7], v[28:29]
	v_add_f64 v[36:37], v[36:37], v[40:41]
	v_fmac_f64_e32 v[10:11], s[16:17], v[28:29]
	v_add_f64 v[28:29], v[16:17], v[20:21]
	v_fmac_f64_e32 v[34:35], s[10:11], v[36:37]
	v_fmac_f64_e32 v[10:11], s[10:11], v[36:37]
	v_fma_f64 v[28:29], -0.5, v[28:29], v[12:13]
	v_add_f64 v[0:1], v[0:1], -v[22:23]
	v_add_f64 v[36:37], v[2:3], -v[16:17]
	;; [unrolled: 1-line block ×3, first 2 shown]
	v_fma_f64 v[32:33], s[14:15], v[0:1], v[28:29]
	v_add_f64 v[36:37], v[36:37], v[40:41]
	v_add_f64 v[40:41], v[14:15], -v[18:19]
	v_fmac_f64_e32 v[28:29], s[0:1], v[0:1]
	v_fmac_f64_e32 v[32:33], s[16:17], v[40:41]
	;; [unrolled: 1-line block ×3, first 2 shown]
	v_add_f64 v[8:9], v[14:15], v[8:9]
	v_fmac_f64_e32 v[32:33], s[10:11], v[36:37]
	v_fmac_f64_e32 v[28:29], s[10:11], v[36:37]
	v_add_f64 v[36:37], v[2:3], v[12:13]
	v_add_f64 v[8:9], v[8:9], v[18:19]
	;; [unrolled: 1-line block ×5, first 2 shown]
	v_fmac_f64_e32 v[12:13], -0.5, v[52:53]
	v_add_f64 v[8:9], v[8:9], v[20:21]
	v_add_f64 v[36:37], v[8:9], v[24:25]
	v_add_f64 v[2:3], v[16:17], -v[2:3]
	v_fma_f64 v[16:17], s[0:1], v[40:41], v[12:13]
	v_add_f64 v[8:9], v[20:21], -v[24:25]
	v_fmac_f64_e32 v[12:13], s[14:15], v[40:41]
	s_mov_b32 s18, 0x9b97f4a8
	v_fmac_f64_e32 v[16:17], s[16:17], v[0:1]
	v_add_f64 v[2:3], v[2:3], v[8:9]
	v_fmac_f64_e32 v[12:13], s[6:7], v[0:1]
	s_mov_b32 s19, 0x3fe9e377
	v_fmac_f64_e32 v[16:17], s[10:11], v[2:3]
	v_fmac_f64_e32 v[12:13], s[10:11], v[2:3]
	v_mul_f64 v[2:3], v[26:27], s[18:19]
	v_mul_f64 v[0:1], v[10:11], s[10:11]
	v_fma_f64 v[22:23], v[28:29], s[6:7], -v[2:3]
	v_mul_f64 v[2:3], v[12:13], s[10:11]
	v_mul_f64 v[40:41], v[30:31], s[18:19]
	;; [unrolled: 1-line block ×3, first 2 shown]
	v_fma_f64 v[18:19], v[12:13], s[0:1], -v[0:1]
	v_mul_f64 v[54:55], v[30:31], s[16:17]
	v_mul_f64 v[58:59], v[34:35], s[14:15]
	v_fma_f64 v[12:13], v[10:11], s[14:15], -v[2:3]
	v_mul_f64 v[10:11], v[28:29], s[18:19]
	v_fmac_f64_e32 v[40:41], s[6:7], v[32:33]
	v_fmac_f64_e32 v[52:53], s[10:11], v[34:35]
	v_fmac_f64_e32 v[54:55], s[18:19], v[32:33]
	v_fmac_f64_e32 v[58:59], s[10:11], v[16:17]
	v_fma_f64 v[34:35], v[26:27], s[16:17], -v[10:11]
	v_add_f64 v[0:1], v[4:5], v[18:19]
	v_add_f64 v[8:9], v[66:67], v[22:23]
	v_add_f64 v[2:3], v[6:7], v[12:13]
	v_add_f64 v[10:11], v[68:69], v[34:35]
	v_add_f64 v[16:17], v[38:39], -v[14:15]
	v_add_f64 v[20:21], v[42:43], -v[40:41]
	;; [unrolled: 1-line block ×10, first 2 shown]
	v_mul_lo_u16_e32 v65, 10, v60
	s_barrier
	s_and_saveexec_b64 s[0:1], vcc
	s_cbranch_execz .LBB0_7
; %bb.6:
	v_add_f64 v[6:7], v[50:51], v[58:59]
	v_add_f64 v[50:51], v[48:49], v[36:37]
	;; [unrolled: 1-line block ×3, first 2 shown]
	v_add_lshl_u32 v12, v63, v65, 4
	v_add_f64 v[46:47], v[46:47], v[54:55]
	v_add_f64 v[4:5], v[44:45], v[52:53]
	;; [unrolled: 1-line block ×3, first 2 shown]
	ds_write_b128 v12, v[48:51]
	ds_write_b128 v12, v[44:47] offset:16
	ds_write_b128 v12, v[4:7] offset:32
	;; [unrolled: 1-line block ×9, first 2 shown]
.LBB0_7:
	s_or_b64 exec, exec, s[0:1]
	v_lshlrev_b32_e32 v36, 5, v60
	s_load_dwordx4 s[0:3], s[2:3], 0x0
	s_waitcnt lgkmcnt(0)
	s_barrier
	global_load_dwordx4 v[12:15], v36, s[4:5]
	global_load_dwordx4 v[4:7], v36, s[4:5] offset:16
	v_add_lshl_u32 v59, v63, v60, 4
	ds_read_b128 v[36:39], v59
	ds_read_b128 v[40:43], v59 offset:160
	ds_read_b128 v[44:47], v59 offset:320
	s_mov_b32 s4, 0xe8584caa
	s_mov_b32 s5, 0x3febb67a
	;; [unrolled: 1-line block ×4, first 2 shown]
	v_lshl_add_u32 v58, v60, 4, v64
	s_waitcnt vmcnt(1) lgkmcnt(1)
	v_mul_f64 v[48:49], v[42:43], v[14:15]
	v_mul_f64 v[50:51], v[40:41], v[14:15]
	s_waitcnt vmcnt(0) lgkmcnt(0)
	v_mul_f64 v[52:53], v[46:47], v[6:7]
	v_mul_f64 v[54:55], v[44:45], v[6:7]
	v_fma_f64 v[40:41], v[40:41], v[12:13], -v[48:49]
	v_fmac_f64_e32 v[50:51], v[42:43], v[12:13]
	v_fma_f64 v[42:43], v[44:45], v[4:5], -v[52:53]
	v_fmac_f64_e32 v[54:55], v[46:47], v[4:5]
	v_add_f64 v[46:47], v[40:41], v[42:43]
	v_add_f64 v[48:49], v[50:51], -v[54:55]
	v_add_f64 v[52:53], v[38:39], v[50:51]
	v_add_f64 v[50:51], v[50:51], v[54:55]
	;; [unrolled: 1-line block ×3, first 2 shown]
	v_add_f64 v[66:67], v[40:41], -v[42:43]
	v_fmac_f64_e32 v[36:37], -0.5, v[46:47]
	v_fmac_f64_e32 v[38:39], -0.5, v[50:51]
	v_add_f64 v[40:41], v[44:45], v[42:43]
	v_add_f64 v[42:43], v[52:53], v[54:55]
	v_fma_f64 v[44:45], s[4:5], v[48:49], v[36:37]
	v_fmac_f64_e32 v[36:37], s[6:7], v[48:49]
	v_fma_f64 v[46:47], s[6:7], v[66:67], v[38:39]
	v_fmac_f64_e32 v[38:39], s[4:5], v[66:67]
	ds_write_b128 v58, v[40:43]
	ds_write_b128 v58, v[44:47] offset:160
	ds_write_b128 v58, v[36:39] offset:320
	s_waitcnt lgkmcnt(0)
	s_barrier
	s_and_saveexec_b64 s[4:5], vcc
	s_cbranch_execz .LBB0_9
; %bb.8:
	global_load_dwordx4 v[48:51], v62, s[8:9] offset:480
	s_add_u32 s6, s8, 0x1e0
	s_addc_u32 s7, s9, 0
	global_load_dwordx4 v[52:55], v62, s[6:7] offset:48
	global_load_dwordx4 v[66:69], v62, s[6:7] offset:96
	;; [unrolled: 1-line block ×9, first 2 shown]
	ds_read_b128 v[98:101], v58
	ds_read_b128 v[102:105], v58 offset:48
	ds_read_b128 v[106:109], v58 offset:96
	ds_read_b128 v[110:113], v58 offset:144
	s_waitcnt vmcnt(8) lgkmcnt(2)
	v_mul_f64 v[118:119], v[104:105], v[54:55]
	v_mul_f64 v[120:121], v[102:103], v[54:55]
	v_fma_f64 v[118:119], v[102:103], v[52:53], -v[118:119]
	s_waitcnt vmcnt(7) lgkmcnt(1)
	v_mul_f64 v[102:103], v[108:109], v[68:69]
	v_mul_f64 v[54:55], v[106:107], v[68:69]
	;; [unrolled: 1-line block ×4, first 2 shown]
	v_fma_f64 v[114:115], v[98:99], v[48:49], -v[114:115]
	v_fmac_f64_e32 v[116:117], v[100:101], v[48:49]
	ds_read_b128 v[48:51], v58 offset:192
	ds_read_b128 v[98:101], v58 offset:240
	v_fmac_f64_e32 v[120:121], v[104:105], v[52:53]
	v_fma_f64 v[52:53], v[106:107], v[66:67], -v[102:103]
	v_fmac_f64_e32 v[54:55], v[108:109], v[66:67]
	s_waitcnt vmcnt(6) lgkmcnt(2)
	v_mul_f64 v[106:107], v[112:113], v[72:73]
	v_mul_f64 v[108:109], v[110:111], v[72:73]
	ds_read_b128 v[66:69], v58 offset:288
	ds_read_b128 v[102:105], v58 offset:336
	v_fma_f64 v[106:107], v[110:111], v[70:71], -v[106:107]
	v_fmac_f64_e32 v[108:109], v[112:113], v[70:71]
	ds_read_b128 v[70:73], v58 offset:384
	ds_read_b128 v[110:113], v58 offset:432
	ds_write_b128 v58, v[114:117]
	s_waitcnt vmcnt(5) lgkmcnt(6)
	v_mul_f64 v[114:115], v[50:51], v[76:77]
	v_mul_f64 v[116:117], v[48:49], v[76:77]
	v_fma_f64 v[114:115], v[48:49], v[74:75], -v[114:115]
	s_waitcnt vmcnt(4) lgkmcnt(5)
	v_mul_f64 v[48:49], v[100:101], v[80:81]
	v_fmac_f64_e32 v[116:117], v[50:51], v[74:75]
	v_mul_f64 v[50:51], v[98:99], v[80:81]
	s_waitcnt vmcnt(3) lgkmcnt(4)
	v_mul_f64 v[74:75], v[68:69], v[84:85]
	v_mul_f64 v[76:77], v[66:67], v[84:85]
	v_fma_f64 v[48:49], v[98:99], v[78:79], -v[48:49]
	v_fmac_f64_e32 v[50:51], v[100:101], v[78:79]
	s_waitcnt vmcnt(2) lgkmcnt(3)
	v_mul_f64 v[78:79], v[104:105], v[88:89]
	v_mul_f64 v[80:81], v[102:103], v[88:89]
	s_waitcnt vmcnt(1) lgkmcnt(2)
	v_mul_f64 v[88:89], v[72:73], v[92:93]
	v_fma_f64 v[74:75], v[66:67], v[82:83], -v[74:75]
	v_fmac_f64_e32 v[76:77], v[68:69], v[82:83]
	v_mul_f64 v[68:69], v[70:71], v[92:93]
	s_waitcnt vmcnt(0) lgkmcnt(1)
	v_mul_f64 v[82:83], v[112:113], v[96:97]
	v_mul_f64 v[84:85], v[110:111], v[96:97]
	v_fma_f64 v[78:79], v[102:103], v[86:87], -v[78:79]
	v_fmac_f64_e32 v[80:81], v[104:105], v[86:87]
	v_fma_f64 v[66:67], v[70:71], v[90:91], -v[88:89]
	v_fmac_f64_e32 v[68:69], v[72:73], v[90:91]
	;; [unrolled: 2-line block ×3, first 2 shown]
	ds_write_b128 v58, v[118:121] offset:48
	ds_write_b128 v58, v[52:55] offset:96
	;; [unrolled: 1-line block ×9, first 2 shown]
.LBB0_9:
	s_or_b64 exec, exec, s[4:5]
	s_waitcnt lgkmcnt(0)
	s_barrier
	s_and_saveexec_b64 s[4:5], vcc
	s_cbranch_execz .LBB0_11
; %bb.10:
	ds_read_b128 v[40:43], v58
	ds_read_b128 v[44:47], v58 offset:48
	ds_read_b128 v[36:39], v58 offset:96
	;; [unrolled: 1-line block ×9, first 2 shown]
.LBB0_11:
	s_or_b64 exec, exec, s[4:5]
	s_waitcnt lgkmcnt(0)
	s_barrier
	s_and_saveexec_b64 s[4:5], vcc
	s_cbranch_execz .LBB0_13
; %bb.12:
	v_add_f64 v[48:49], v[38:39], -v[10:11]
	v_add_f64 v[50:51], v[30:31], -v[22:23]
	v_add_f64 v[50:51], v[48:49], v[50:51]
	v_add_f64 v[48:49], v[10:11], v[22:23]
	v_fma_f64 v[54:55], -0.5, v[48:49], v[42:43]
	v_add_f64 v[48:49], v[0:1], -v[16:17]
	v_add_f64 v[52:53], v[32:33], -v[24:25]
	v_add_f64 v[72:73], v[48:49], v[52:53]
	v_add_f64 v[48:49], v[16:17], v[24:25]
	v_fma_f64 v[76:77], -0.5, v[48:49], v[44:45]
	v_add_f64 v[48:49], v[2:3], -v[18:19]
	v_add_f64 v[52:53], v[34:35], -v[26:27]
	v_add_f64 v[84:85], v[48:49], v[52:53]
	v_add_f64 v[52:53], v[10:11], -v[38:39]
	v_add_f64 v[68:69], v[22:23], -v[30:31]
	v_add_f64 v[68:69], v[52:53], v[68:69]
	v_add_f64 v[52:53], v[38:39], v[30:31]
	v_fma_f64 v[96:97], -0.5, v[52:53], v[42:43]
	v_add_f64 v[52:53], v[16:17], -v[0:1]
	v_add_f64 v[100:101], v[24:25], -v[32:33]
	v_add_f64 v[100:101], v[52:53], v[100:101]
	v_add_f64 v[52:53], v[0:1], v[32:33]
	v_fma_f64 v[102:103], -0.5, v[52:53], v[44:45]
	v_add_f64 v[52:53], v[18:19], -v[2:3]
	v_add_f64 v[106:107], v[26:27], -v[34:35]
	s_mov_b32 s6, 0x134454ff
	v_add_f64 v[78:79], v[2:3], -v[34:35]
	v_add_f64 v[48:49], v[18:19], v[26:27]
	v_add_f64 v[106:107], v[52:53], v[106:107]
	;; [unrolled: 1-line block ×4, first 2 shown]
	s_mov_b32 s7, 0xbfee6f0e
	s_mov_b32 s10, 0x4755a5e
	v_fma_f64 v[86:87], -0.5, v[48:49], v[46:47]
	v_add_f64 v[88:89], v[0:1], -v[32:33]
	v_add_f64 v[42:43], v[38:39], v[42:43]
	v_add_f64 v[2:3], v[18:19], v[2:3]
	s_mov_b32 s11, 0xbfe2cf23
	s_mov_b32 s14, 0x372fe950
	;; [unrolled: 1-line block ×4, first 2 shown]
	v_add_f64 v[82:83], v[18:19], -v[26:27]
	v_fma_f64 v[90:91], s[6:7], v[88:89], v[86:87]
	v_add_f64 v[92:93], v[16:17], -v[24:25]
	v_add_f64 v[42:43], v[10:11], v[42:43]
	v_add_f64 v[2:3], v[2:3], v[26:27]
	v_add_f64 v[18:19], v[36:37], -v[8:9]
	v_add_f64 v[26:27], v[28:29], -v[20:21]
	s_mov_b32 s15, 0x3fd3c6ef
	v_fma_f64 v[80:81], s[16:17], v[78:79], v[76:77]
	s_mov_b32 s19, 0x3fe2cf23
	s_mov_b32 s18, s10
	v_fmac_f64_e32 v[90:91], s[10:11], v[92:93]
	s_mov_b32 s20, 0x9b97f4a8
	v_fmac_f64_e32 v[76:77], s[6:7], v[78:79]
	v_fmac_f64_e32 v[86:87], s[16:17], v[88:89]
	v_add_f64 v[42:43], v[42:43], v[22:23]
	v_add_f64 v[18:19], v[18:19], v[26:27]
	;; [unrolled: 1-line block ×3, first 2 shown]
	v_fmac_f64_e32 v[80:81], s[18:19], v[82:83]
	v_fmac_f64_e32 v[90:91], s[14:15], v[84:85]
	s_mov_b32 s21, 0xbfe9e377
	v_fma_f64 v[104:105], s[6:7], v[82:83], v[102:103]
	v_fmac_f64_e32 v[102:103], s[16:17], v[82:83]
	v_fmac_f64_e32 v[76:77], s[10:11], v[82:83]
	;; [unrolled: 1-line block ×3, first 2 shown]
	v_add_f64 v[42:43], v[42:43], v[30:31]
	v_fma_f64 v[82:83], -0.5, v[26:27], v[40:41]
	v_add_f64 v[26:27], v[38:39], -v[30:31]
	v_add_f64 v[10:11], v[10:11], -v[22:23]
	;; [unrolled: 1-line block ×4, first 2 shown]
	v_fmac_f64_e32 v[80:81], s[14:15], v[72:73]
	v_mul_f64 v[94:95], v[90:91], s[20:21]
	v_fma_f64 v[108:109], -0.5, v[52:53], v[46:47]
	v_fmac_f64_e32 v[86:87], s[14:15], v[84:85]
	v_mul_f64 v[84:85], v[90:91], s[10:11]
	v_add_f64 v[22:23], v[22:23], v[30:31]
	v_add_f64 v[30:31], v[36:37], v[28:29]
	v_fmac_f64_e32 v[94:95], s[18:19], v[80:81]
	v_fma_f64 v[110:111], s[16:17], v[92:93], v[108:109]
	v_fmac_f64_e32 v[108:109], s[6:7], v[92:93]
	v_fma_f64 v[38:39], s[16:17], v[26:27], v[82:83]
	v_fmac_f64_e32 v[84:85], s[20:21], v[80:81]
	v_fma_f64 v[80:81], -0.5, v[30:31], v[40:41]
	v_fmac_f64_e32 v[82:83], s[6:7], v[26:27]
	v_fmac_f64_e32 v[110:111], s[10:11], v[88:89]
	;; [unrolled: 1-line block ×4, first 2 shown]
	v_fma_f64 v[88:89], s[6:7], v[10:11], v[80:81]
	v_fmac_f64_e32 v[80:81], s[16:17], v[10:11]
	v_fmac_f64_e32 v[82:83], s[10:11], v[10:11]
	v_add_f64 v[10:11], v[36:37], v[40:41]
	v_add_f64 v[0:1], v[0:1], v[44:45]
	v_add_f64 v[66:67], v[36:37], -v[28:29]
	v_add_f64 v[70:71], v[8:9], -v[20:21]
	v_fmac_f64_e32 v[76:77], s[14:15], v[72:73]
	v_add_f64 v[8:9], v[8:9], v[10:11]
	v_add_f64 v[0:1], v[16:17], v[0:1]
	v_fma_f64 v[74:75], s[6:7], v[66:67], v[54:55]
	v_fma_f64 v[98:99], s[16:17], v[70:71], v[96:97]
	v_fmac_f64_e32 v[104:105], s[18:19], v[78:79]
	v_fmac_f64_e32 v[110:111], s[14:15], v[106:107]
	s_mov_b32 s23, 0xbfd3c6ef
	s_mov_b32 s22, s14
	v_fmac_f64_e32 v[96:97], s[6:7], v[70:71]
	v_fmac_f64_e32 v[102:103], s[10:11], v[78:79]
	;; [unrolled: 1-line block ×4, first 2 shown]
	v_mul_f64 v[78:79], v[76:77], s[18:19]
	s_mov_b32 s25, 0x3fe9e377
	s_mov_b32 s24, s20
	v_add_f64 v[8:9], v[20:21], v[8:9]
	v_add_f64 v[0:1], v[0:1], v[24:25]
	v_fmac_f64_e32 v[74:75], s[10:11], v[70:71]
	v_fmac_f64_e32 v[98:99], s[10:11], v[66:67]
	;; [unrolled: 1-line block ×3, first 2 shown]
	v_mul_f64 v[112:113], v[110:111], s[22:23]
	v_fmac_f64_e32 v[96:97], s[18:19], v[66:67]
	v_fmac_f64_e32 v[102:103], s[14:15], v[100:101]
	v_mul_f64 v[100:101], v[108:109], s[14:15]
	v_fmac_f64_e32 v[54:55], s[18:19], v[70:71]
	v_fmac_f64_e32 v[78:79], s[24:25], v[86:87]
	v_add_f64 v[34:35], v[2:3], v[34:35]
	v_fmac_f64_e32 v[88:89], s[18:19], v[26:27]
	v_mul_f64 v[90:91], v[110:111], s[6:7]
	v_fmac_f64_e32 v[80:81], s[10:11], v[26:27]
	v_mul_f64 v[92:93], v[108:109], s[6:7]
	v_mul_f64 v[86:87], v[86:87], s[10:11]
	v_add_f64 v[28:29], v[8:9], v[28:29]
	v_add_f64 v[32:33], v[0:1], v[32:33]
	v_fmac_f64_e32 v[74:75], s[14:15], v[50:51]
	v_fmac_f64_e32 v[98:99], s[14:15], v[68:69]
	;; [unrolled: 1-line block ×13, first 2 shown]
	v_add_f64 v[0:1], v[28:29], -v[32:33]
	v_add_f64 v[30:31], v[42:43], v[34:35]
	v_add_f64 v[28:29], v[28:29], v[32:33]
	v_lshl_add_u32 v32, v65, 4, v64
	v_add_f64 v[48:49], v[74:75], -v[94:95]
	v_add_f64 v[52:53], v[98:99], -v[112:113]
	;; [unrolled: 1-line block ×9, first 2 shown]
	v_add_f64 v[10:11], v[74:75], v[94:95]
	v_add_f64 v[18:19], v[98:99], v[112:113]
	;; [unrolled: 1-line block ×8, first 2 shown]
	ds_write_b128 v32, v[28:31]
	ds_write_b128 v32, v[24:27] offset:16
	ds_write_b128 v32, v[20:23] offset:32
	;; [unrolled: 1-line block ×9, first 2 shown]
.LBB0_13:
	s_or_b64 exec, exec, s[4:5]
	s_waitcnt lgkmcnt(0)
	s_barrier
	ds_read_b128 v[0:3], v59 offset:160
	ds_read_b128 v[8:11], v59
	ds_read_b128 v[16:19], v59 offset:320
	s_mov_b32 s4, 0xe8584caa
	s_mov_b32 s5, 0xbfebb67a
	s_waitcnt lgkmcnt(2)
	v_mul_f64 v[20:21], v[14:15], v[2:3]
	v_fmac_f64_e32 v[20:21], v[12:13], v[0:1]
	v_mul_f64 v[0:1], v[14:15], v[0:1]
	s_waitcnt lgkmcnt(0)
	v_mul_f64 v[14:15], v[6:7], v[18:19]
	v_fma_f64 v[12:13], v[12:13], v[2:3], -v[0:1]
	v_fmac_f64_e32 v[14:15], v[4:5], v[16:17]
	v_mul_f64 v[0:1], v[6:7], v[16:17]
	v_fma_f64 v[6:7], v[4:5], v[18:19], -v[0:1]
	v_add_f64 v[2:3], v[20:21], v[14:15]
	v_add_f64 v[0:1], v[8:9], v[20:21]
	v_fmac_f64_e32 v[8:9], -0.5, v[2:3]
	v_add_f64 v[2:3], v[12:13], -v[6:7]
	s_mov_b32 s7, 0x3febb67a
	s_mov_b32 s6, s4
	v_fma_f64 v[4:5], s[4:5], v[2:3], v[8:9]
	v_fmac_f64_e32 v[8:9], s[6:7], v[2:3]
	v_add_f64 v[2:3], v[10:11], v[12:13]
	v_add_f64 v[2:3], v[2:3], v[6:7]
	;; [unrolled: 1-line block ×4, first 2 shown]
	v_fmac_f64_e32 v[10:11], -0.5, v[6:7]
	v_add_f64 v[12:13], v[20:21], -v[14:15]
	v_fma_f64 v[6:7], s[6:7], v[12:13], v[10:11]
	v_fmac_f64_e32 v[10:11], s[4:5], v[12:13]
	ds_write_b128 v58, v[0:3]
	ds_write_b128 v58, v[4:7] offset:160
	ds_write_b128 v58, v[8:11] offset:320
	s_waitcnt lgkmcnt(0)
	s_barrier
	s_and_b64 exec, exec, vcc
	s_cbranch_execz .LBB0_15
; %bb.14:
	global_load_dwordx4 v[0:3], v62, s[8:9]
	global_load_dwordx4 v[4:7], v62, s[8:9] offset:48
	global_load_dwordx4 v[8:11], v62, s[8:9] offset:96
	;; [unrolled: 1-line block ×9, first 2 shown]
	v_mad_u64_u32 v[72:73], s[4:5], s2, v56, 0
	v_mad_u64_u32 v[74:75], s[6:7], s0, v60, 0
	v_mov_b32_e32 v78, v73
	v_mad_u64_u32 v[76:77], s[6:7], s0, v61, 0
	v_mov_b32_e32 v80, v75
	;; [unrolled: 2-line block ×3, first 2 shown]
	v_mov_b32_e32 v71, s13
	v_lshl_add_u32 v90, v63, 4, v62
	ds_read_b128 v[40:43], v58
	ds_read_b128 v[44:47], v90 offset:48
	ds_read_b128 v[48:51], v90 offset:96
	;; [unrolled: 1-line block ×3, first 2 shown]
	v_mov_b32_e32 v58, v77
	v_mad_u64_u32 v[80:81], s[6:7], s1, v60, v[80:81]
	v_mov_b32_e32 v73, v78
	v_mad_u64_u32 v[58:59], s[6:7], s1, v61, v[58:59]
	v_mov_b32_e32 v75, v80
	v_lshl_add_u64 v[60:61], v[72:73], 4, v[70:71]
	ds_read_b128 v[62:65], v90 offset:192
	ds_read_b128 v[66:69], v90 offset:240
	v_lshl_add_u64 v[70:71], v[74:75], 4, v[60:61]
	s_mul_i32 s2, s1, 48
	v_mad_u64_u32 v[72:73], s[6:7], s0, 48, v[70:71]
	v_add_u32_e32 v73, s2, v73
	s_mov_b32 s4, 0x11111111
	v_mad_u64_u32 v[74:75], s[6:7], s0, 48, v[72:73]
	s_mov_b32 s5, 0x3fa11111
	v_add_u32_e32 v75, s2, v75
	v_mad_u64_u32 v[78:79], s[6:7], s0, 48, v[74:75]
	v_mov_b32_e32 v77, v58
	v_add_u32_e32 v79, s2, v79
	s_mul_i32 s8, s1, 0x60
	s_waitcnt vmcnt(9) lgkmcnt(5)
	v_mul_f64 v[80:81], v[42:43], v[2:3]
	v_mul_f64 v[2:3], v[40:41], v[2:3]
	s_waitcnt vmcnt(8) lgkmcnt(4)
	v_mul_f64 v[82:83], v[46:47], v[6:7]
	v_mul_f64 v[6:7], v[44:45], v[6:7]
	;; [unrolled: 3-line block ×5, first 2 shown]
	v_fmac_f64_e32 v[80:81], v[40:41], v[0:1]
	v_fma_f64 v[2:3], v[0:1], v[42:43], -v[2:3]
	v_fmac_f64_e32 v[82:83], v[44:45], v[4:5]
	v_fma_f64 v[6:7], v[4:5], v[46:47], -v[6:7]
	;; [unrolled: 2-line block ×5, first 2 shown]
	v_mul_f64 v[0:1], v[80:81], s[4:5]
	v_mul_f64 v[2:3], v[2:3], s[4:5]
	;; [unrolled: 1-line block ×10, first 2 shown]
	global_store_dwordx4 v[70:71], v[0:3], off
	global_store_dwordx4 v[72:73], v[4:7], off
	;; [unrolled: 1-line block ×4, first 2 shown]
	v_lshl_add_u64 v[0:1], v[76:77], 4, v[60:61]
	global_store_dwordx4 v[0:1], v[16:19], off
	s_waitcnt vmcnt(9) lgkmcnt(0)
	v_mul_f64 v[0:1], v[68:69], v[22:23]
	v_mul_f64 v[2:3], v[66:67], v[22:23]
	v_mov_b32_e32 v14, 0x60
	ds_read_b128 v[4:7], v90 offset:288
	v_fmac_f64_e32 v[0:1], v[66:67], v[20:21]
	v_fma_f64 v[2:3], v[20:21], v[68:69], -v[2:3]
	v_mad_u64_u32 v[12:13], s[6:7], s0, v14, v[78:79]
	v_mul_f64 v[0:1], v[0:1], s[4:5]
	v_mul_f64 v[2:3], v[2:3], s[4:5]
	v_add_u32_e32 v13, s8, v13
	global_store_dwordx4 v[12:13], v[0:3], off
	ds_read_b128 v[0:3], v90 offset:336
	s_waitcnt vmcnt(9) lgkmcnt(1)
	v_mul_f64 v[8:9], v[6:7], v[26:27]
	v_fmac_f64_e32 v[8:9], v[4:5], v[24:25]
	v_mul_f64 v[4:5], v[4:5], v[26:27]
	v_fma_f64 v[4:5], v[24:25], v[6:7], -v[4:5]
	v_mul_f64 v[10:11], v[4:5], s[4:5]
	s_waitcnt vmcnt(8) lgkmcnt(0)
	v_mul_f64 v[4:5], v[2:3], v[30:31]
	v_fmac_f64_e32 v[4:5], v[0:1], v[28:29]
	v_mul_f64 v[0:1], v[0:1], v[30:31]
	v_fma_f64 v[0:1], v[28:29], v[2:3], -v[0:1]
	v_mul_f64 v[6:7], v[0:1], s[4:5]
	ds_read_b128 v[0:3], v90 offset:384
	v_mad_u64_u32 v[12:13], s[6:7], s0, 48, v[12:13]
	v_mul_f64 v[8:9], v[8:9], s[4:5]
	v_add_u32_e32 v13, s2, v13
	global_store_dwordx4 v[12:13], v[8:11], off
	v_mad_u64_u32 v[12:13], s[6:7], s0, 48, v[12:13]
	v_mul_f64 v[4:5], v[4:5], s[4:5]
	v_add_u32_e32 v13, s2, v13
	global_store_dwordx4 v[12:13], v[4:7], off
	ds_read_b128 v[4:7], v90 offset:432
	s_waitcnt vmcnt(9) lgkmcnt(1)
	v_mul_f64 v[8:9], v[2:3], v[34:35]
	v_fmac_f64_e32 v[8:9], v[0:1], v[32:33]
	v_mul_f64 v[0:1], v[0:1], v[34:35]
	v_fma_f64 v[0:1], v[32:33], v[2:3], -v[0:1]
	v_mul_f64 v[10:11], v[0:1], s[4:5]
	v_mad_u64_u32 v[0:1], s[2:3], s0, v57, 0
	v_mov_b32_e32 v2, v1
	v_mad_u64_u32 v[2:3], s[2:3], s1, v57, v[2:3]
	v_mov_b32_e32 v1, v2
	v_mul_f64 v[8:9], v[8:9], s[4:5]
	v_lshl_add_u64 v[0:1], v[0:1], 4, v[60:61]
	global_store_dwordx4 v[0:1], v[8:11], off
	s_waitcnt vmcnt(9) lgkmcnt(0)
	v_mul_f64 v[0:1], v[6:7], v[38:39]
	v_mul_f64 v[2:3], v[4:5], v[38:39]
	v_fmac_f64_e32 v[0:1], v[4:5], v[36:37]
	v_fma_f64 v[2:3], v[36:37], v[6:7], -v[2:3]
	v_mad_u64_u32 v[4:5], s[0:1], s0, v14, v[12:13]
	v_mul_f64 v[0:1], v[0:1], s[4:5]
	v_mul_f64 v[2:3], v[2:3], s[4:5]
	v_add_u32_e32 v5, s8, v5
	global_store_dwordx4 v[4:5], v[0:3], off
.LBB0_15:
	s_endpgm
	.section	.rodata,"a",@progbits
	.p2align	6, 0x0
	.amdhsa_kernel bluestein_single_fwd_len30_dim1_dp_op_CI_CI
		.amdhsa_group_segment_fixed_size 5760
		.amdhsa_private_segment_fixed_size 0
		.amdhsa_kernarg_size 104
		.amdhsa_user_sgpr_count 2
		.amdhsa_user_sgpr_dispatch_ptr 0
		.amdhsa_user_sgpr_queue_ptr 0
		.amdhsa_user_sgpr_kernarg_segment_ptr 1
		.amdhsa_user_sgpr_dispatch_id 0
		.amdhsa_user_sgpr_kernarg_preload_length 0
		.amdhsa_user_sgpr_kernarg_preload_offset 0
		.amdhsa_user_sgpr_private_segment_size 0
		.amdhsa_uses_dynamic_stack 0
		.amdhsa_enable_private_segment 0
		.amdhsa_system_sgpr_workgroup_id_x 1
		.amdhsa_system_sgpr_workgroup_id_y 0
		.amdhsa_system_sgpr_workgroup_id_z 0
		.amdhsa_system_sgpr_workgroup_info 0
		.amdhsa_system_vgpr_workitem_id 0
		.amdhsa_next_free_vgpr 122
		.amdhsa_next_free_sgpr 26
		.amdhsa_accum_offset 124
		.amdhsa_reserve_vcc 1
		.amdhsa_float_round_mode_32 0
		.amdhsa_float_round_mode_16_64 0
		.amdhsa_float_denorm_mode_32 3
		.amdhsa_float_denorm_mode_16_64 3
		.amdhsa_dx10_clamp 1
		.amdhsa_ieee_mode 1
		.amdhsa_fp16_overflow 0
		.amdhsa_tg_split 0
		.amdhsa_exception_fp_ieee_invalid_op 0
		.amdhsa_exception_fp_denorm_src 0
		.amdhsa_exception_fp_ieee_div_zero 0
		.amdhsa_exception_fp_ieee_overflow 0
		.amdhsa_exception_fp_ieee_underflow 0
		.amdhsa_exception_fp_ieee_inexact 0
		.amdhsa_exception_int_div_zero 0
	.end_amdhsa_kernel
	.text
.Lfunc_end0:
	.size	bluestein_single_fwd_len30_dim1_dp_op_CI_CI, .Lfunc_end0-bluestein_single_fwd_len30_dim1_dp_op_CI_CI
                                        ; -- End function
	.section	.AMDGPU.csdata,"",@progbits
; Kernel info:
; codeLenInByte = 5736
; NumSgprs: 32
; NumVgprs: 122
; NumAgprs: 0
; TotalNumVgprs: 122
; ScratchSize: 0
; MemoryBound: 0
; FloatMode: 240
; IeeeMode: 1
; LDSByteSize: 5760 bytes/workgroup (compile time only)
; SGPRBlocks: 3
; VGPRBlocks: 15
; NumSGPRsForWavesPerEU: 32
; NumVGPRsForWavesPerEU: 122
; AccumOffset: 124
; Occupancy: 4
; WaveLimiterHint : 1
; COMPUTE_PGM_RSRC2:SCRATCH_EN: 0
; COMPUTE_PGM_RSRC2:USER_SGPR: 2
; COMPUTE_PGM_RSRC2:TRAP_HANDLER: 0
; COMPUTE_PGM_RSRC2:TGID_X_EN: 1
; COMPUTE_PGM_RSRC2:TGID_Y_EN: 0
; COMPUTE_PGM_RSRC2:TGID_Z_EN: 0
; COMPUTE_PGM_RSRC2:TIDIG_COMP_CNT: 0
; COMPUTE_PGM_RSRC3_GFX90A:ACCUM_OFFSET: 30
; COMPUTE_PGM_RSRC3_GFX90A:TG_SPLIT: 0
	.text
	.p2alignl 6, 3212836864
	.fill 256, 4, 3212836864
	.type	__hip_cuid_b0a996c100ac731b,@object ; @__hip_cuid_b0a996c100ac731b
	.section	.bss,"aw",@nobits
	.globl	__hip_cuid_b0a996c100ac731b
__hip_cuid_b0a996c100ac731b:
	.byte	0                               ; 0x0
	.size	__hip_cuid_b0a996c100ac731b, 1

	.ident	"AMD clang version 19.0.0git (https://github.com/RadeonOpenCompute/llvm-project roc-6.4.0 25133 c7fe45cf4b819c5991fe208aaa96edf142730f1d)"
	.section	".note.GNU-stack","",@progbits
	.addrsig
	.addrsig_sym __hip_cuid_b0a996c100ac731b
	.amdgpu_metadata
---
amdhsa.kernels:
  - .agpr_count:     0
    .args:
      - .actual_access:  read_only
        .address_space:  global
        .offset:         0
        .size:           8
        .value_kind:     global_buffer
      - .actual_access:  read_only
        .address_space:  global
        .offset:         8
        .size:           8
        .value_kind:     global_buffer
      - .actual_access:  read_only
        .address_space:  global
        .offset:         16
        .size:           8
        .value_kind:     global_buffer
      - .actual_access:  read_only
        .address_space:  global
        .offset:         24
        .size:           8
        .value_kind:     global_buffer
      - .actual_access:  read_only
        .address_space:  global
        .offset:         32
        .size:           8
        .value_kind:     global_buffer
      - .offset:         40
        .size:           8
        .value_kind:     by_value
      - .address_space:  global
        .offset:         48
        .size:           8
        .value_kind:     global_buffer
      - .address_space:  global
        .offset:         56
        .size:           8
        .value_kind:     global_buffer
      - .address_space:  global
        .offset:         64
        .size:           8
        .value_kind:     global_buffer
      - .address_space:  global
        .offset:         72
        .size:           8
        .value_kind:     global_buffer
      - .offset:         80
        .size:           4
        .value_kind:     by_value
      - .address_space:  global
        .offset:         88
        .size:           8
        .value_kind:     global_buffer
      - .address_space:  global
        .offset:         96
        .size:           8
        .value_kind:     global_buffer
    .group_segment_fixed_size: 5760
    .kernarg_segment_align: 8
    .kernarg_segment_size: 104
    .language:       OpenCL C
    .language_version:
      - 2
      - 0
    .max_flat_workgroup_size: 120
    .name:           bluestein_single_fwd_len30_dim1_dp_op_CI_CI
    .private_segment_fixed_size: 0
    .sgpr_count:     32
    .sgpr_spill_count: 0
    .symbol:         bluestein_single_fwd_len30_dim1_dp_op_CI_CI.kd
    .uniform_work_group_size: 1
    .uses_dynamic_stack: false
    .vgpr_count:     122
    .vgpr_spill_count: 0
    .wavefront_size: 64
amdhsa.target:   amdgcn-amd-amdhsa--gfx950
amdhsa.version:
  - 1
  - 2
...

	.end_amdgpu_metadata
